;; amdgpu-corpus repo=ROCm/rocFFT kind=compiled arch=gfx950 opt=O3
	.text
	.amdgcn_target "amdgcn-amd-amdhsa--gfx950"
	.amdhsa_code_object_version 6
	.protected	fft_rtc_back_len882_factors_9_7_7_2_wgs_63_tpt_63_sp_ip_CI_unitstride_sbrr_dirReg ; -- Begin function fft_rtc_back_len882_factors_9_7_7_2_wgs_63_tpt_63_sp_ip_CI_unitstride_sbrr_dirReg
	.globl	fft_rtc_back_len882_factors_9_7_7_2_wgs_63_tpt_63_sp_ip_CI_unitstride_sbrr_dirReg
	.p2align	8
	.type	fft_rtc_back_len882_factors_9_7_7_2_wgs_63_tpt_63_sp_ip_CI_unitstride_sbrr_dirReg,@function
fft_rtc_back_len882_factors_9_7_7_2_wgs_63_tpt_63_sp_ip_CI_unitstride_sbrr_dirReg: ; @fft_rtc_back_len882_factors_9_7_7_2_wgs_63_tpt_63_sp_ip_CI_unitstride_sbrr_dirReg
; %bb.0:
	s_load_dwordx2 s[8:9], s[0:1], 0x50
	s_load_dwordx4 s[4:7], s[0:1], 0x0
	s_load_dwordx2 s[10:11], s[0:1], 0x18
	v_mul_u32_u24_e32 v1, 0x411, v0
	v_add_u32_sdwa v6, s2, v1 dst_sel:DWORD dst_unused:UNUSED_PAD src0_sel:DWORD src1_sel:WORD_1
	v_mov_b32_e32 v4, 0
	s_waitcnt lgkmcnt(0)
	v_cmp_lt_u64_e64 s[2:3], s[6:7], 2
	v_mov_b32_e32 v7, v4
	s_and_b64 vcc, exec, s[2:3]
	v_mov_b64_e32 v[2:3], 0
	s_cbranch_vccnz .LBB0_8
; %bb.1:
	s_load_dwordx2 s[2:3], s[0:1], 0x10
	s_add_u32 s12, s10, 8
	s_addc_u32 s13, s11, 0
	s_mov_b64 s[14:15], 1
	v_mov_b64_e32 v[2:3], 0
	s_waitcnt lgkmcnt(0)
	s_add_u32 s16, s2, 8
	s_addc_u32 s17, s3, 0
.LBB0_2:                                ; =>This Inner Loop Header: Depth=1
	s_load_dwordx2 s[18:19], s[16:17], 0x0
                                        ; implicit-def: $vgpr8_vgpr9
	s_waitcnt lgkmcnt(0)
	v_or_b32_e32 v5, s19, v7
	v_cmp_ne_u64_e32 vcc, 0, v[4:5]
	s_and_saveexec_b64 s[2:3], vcc
	s_xor_b64 s[20:21], exec, s[2:3]
	s_cbranch_execz .LBB0_4
; %bb.3:                                ;   in Loop: Header=BB0_2 Depth=1
	v_cvt_f32_u32_e32 v1, s18
	v_cvt_f32_u32_e32 v5, s19
	s_sub_u32 s2, 0, s18
	s_subb_u32 s3, 0, s19
	v_fmac_f32_e32 v1, 0x4f800000, v5
	v_rcp_f32_e32 v1, v1
	s_nop 0
	v_mul_f32_e32 v1, 0x5f7ffffc, v1
	v_mul_f32_e32 v5, 0x2f800000, v1
	v_trunc_f32_e32 v5, v5
	v_fmac_f32_e32 v1, 0xcf800000, v5
	v_cvt_u32_f32_e32 v5, v5
	v_cvt_u32_f32_e32 v1, v1
	v_mul_lo_u32 v8, s2, v5
	v_mul_hi_u32 v10, s2, v1
	v_mul_lo_u32 v9, s3, v1
	v_add_u32_e32 v10, v10, v8
	v_mul_lo_u32 v12, s2, v1
	v_add_u32_e32 v13, v10, v9
	v_mul_hi_u32 v8, v1, v12
	v_mul_hi_u32 v11, v1, v13
	v_mul_lo_u32 v10, v1, v13
	v_mov_b32_e32 v9, v4
	v_lshl_add_u64 v[8:9], v[8:9], 0, v[10:11]
	v_mul_hi_u32 v11, v5, v12
	v_mul_lo_u32 v12, v5, v12
	v_add_co_u32_e32 v8, vcc, v8, v12
	v_mul_hi_u32 v10, v5, v13
	s_nop 0
	v_addc_co_u32_e32 v8, vcc, v9, v11, vcc
	v_mov_b32_e32 v9, v4
	s_nop 0
	v_addc_co_u32_e32 v11, vcc, 0, v10, vcc
	v_mul_lo_u32 v10, v5, v13
	v_lshl_add_u64 v[8:9], v[8:9], 0, v[10:11]
	v_add_co_u32_e32 v1, vcc, v1, v8
	v_mul_lo_u32 v10, s2, v1
	s_nop 0
	v_addc_co_u32_e32 v5, vcc, v5, v9, vcc
	v_mul_lo_u32 v8, s2, v5
	v_mul_hi_u32 v9, s2, v1
	v_add_u32_e32 v8, v9, v8
	v_mul_lo_u32 v9, s3, v1
	v_add_u32_e32 v12, v8, v9
	v_mul_hi_u32 v14, v5, v10
	v_mul_lo_u32 v15, v5, v10
	v_mul_hi_u32 v9, v1, v12
	v_mul_lo_u32 v8, v1, v12
	v_mul_hi_u32 v10, v1, v10
	v_mov_b32_e32 v11, v4
	v_lshl_add_u64 v[8:9], v[10:11], 0, v[8:9]
	v_add_co_u32_e32 v8, vcc, v8, v15
	v_mul_hi_u32 v13, v5, v12
	s_nop 0
	v_addc_co_u32_e32 v8, vcc, v9, v14, vcc
	v_mul_lo_u32 v10, v5, v12
	s_nop 0
	v_addc_co_u32_e32 v11, vcc, 0, v13, vcc
	v_mov_b32_e32 v9, v4
	v_lshl_add_u64 v[8:9], v[8:9], 0, v[10:11]
	v_add_co_u32_e32 v1, vcc, v1, v8
	v_mul_hi_u32 v10, v6, v1
	s_nop 0
	v_addc_co_u32_e32 v5, vcc, v5, v9, vcc
	v_mad_u64_u32 v[8:9], s[2:3], v6, v5, 0
	v_mov_b32_e32 v11, v4
	v_lshl_add_u64 v[8:9], v[10:11], 0, v[8:9]
	v_mad_u64_u32 v[12:13], s[2:3], v7, v1, 0
	v_add_co_u32_e32 v1, vcc, v8, v12
	v_mad_u64_u32 v[10:11], s[2:3], v7, v5, 0
	s_nop 0
	v_addc_co_u32_e32 v8, vcc, v9, v13, vcc
	v_mov_b32_e32 v9, v4
	s_nop 0
	v_addc_co_u32_e32 v11, vcc, 0, v11, vcc
	v_lshl_add_u64 v[8:9], v[8:9], 0, v[10:11]
	v_mul_lo_u32 v1, s19, v8
	v_mul_lo_u32 v5, s18, v9
	v_mad_u64_u32 v[10:11], s[2:3], s18, v8, 0
	v_add3_u32 v1, v11, v5, v1
	v_sub_u32_e32 v5, v7, v1
	v_mov_b32_e32 v11, s19
	v_sub_co_u32_e32 v14, vcc, v6, v10
	v_lshl_add_u64 v[12:13], v[8:9], 0, 1
	s_nop 0
	v_subb_co_u32_e64 v5, s[2:3], v5, v11, vcc
	v_subrev_co_u32_e64 v10, s[2:3], s18, v14
	v_subb_co_u32_e32 v1, vcc, v7, v1, vcc
	s_nop 0
	v_subbrev_co_u32_e64 v5, s[2:3], 0, v5, s[2:3]
	v_cmp_le_u32_e64 s[2:3], s19, v5
	v_cmp_le_u32_e32 vcc, s19, v1
	s_nop 0
	v_cndmask_b32_e64 v11, 0, -1, s[2:3]
	v_cmp_le_u32_e64 s[2:3], s18, v10
	s_nop 1
	v_cndmask_b32_e64 v10, 0, -1, s[2:3]
	v_cmp_eq_u32_e64 s[2:3], s19, v5
	s_nop 1
	v_cndmask_b32_e64 v5, v11, v10, s[2:3]
	v_lshl_add_u64 v[10:11], v[8:9], 0, 2
	v_cmp_ne_u32_e64 s[2:3], 0, v5
	s_nop 1
	v_cndmask_b32_e64 v5, v13, v11, s[2:3]
	v_cndmask_b32_e64 v11, 0, -1, vcc
	v_cmp_le_u32_e32 vcc, s18, v14
	s_nop 1
	v_cndmask_b32_e64 v13, 0, -1, vcc
	v_cmp_eq_u32_e32 vcc, s19, v1
	s_nop 1
	v_cndmask_b32_e32 v1, v11, v13, vcc
	v_cmp_ne_u32_e32 vcc, 0, v1
	v_cndmask_b32_e64 v1, v12, v10, s[2:3]
	s_nop 0
	v_cndmask_b32_e32 v9, v9, v5, vcc
	v_cndmask_b32_e32 v8, v8, v1, vcc
.LBB0_4:                                ;   in Loop: Header=BB0_2 Depth=1
	s_andn2_saveexec_b64 s[2:3], s[20:21]
	s_cbranch_execz .LBB0_6
; %bb.5:                                ;   in Loop: Header=BB0_2 Depth=1
	v_cvt_f32_u32_e32 v1, s18
	s_sub_i32 s20, 0, s18
	v_rcp_iflag_f32_e32 v1, v1
	s_nop 0
	v_mul_f32_e32 v1, 0x4f7ffffe, v1
	v_cvt_u32_f32_e32 v1, v1
	v_mul_lo_u32 v5, s20, v1
	v_mul_hi_u32 v5, v1, v5
	v_add_u32_e32 v1, v1, v5
	v_mul_hi_u32 v1, v6, v1
	v_mul_lo_u32 v5, v1, s18
	v_sub_u32_e32 v5, v6, v5
	v_add_u32_e32 v8, 1, v1
	v_subrev_u32_e32 v9, s18, v5
	v_cmp_le_u32_e32 vcc, s18, v5
	s_nop 1
	v_cndmask_b32_e32 v5, v5, v9, vcc
	v_cndmask_b32_e32 v1, v1, v8, vcc
	v_add_u32_e32 v8, 1, v1
	v_cmp_le_u32_e32 vcc, s18, v5
	v_mov_b32_e32 v9, v4
	s_nop 0
	v_cndmask_b32_e32 v8, v1, v8, vcc
.LBB0_6:                                ;   in Loop: Header=BB0_2 Depth=1
	s_or_b64 exec, exec, s[2:3]
	v_mad_u64_u32 v[10:11], s[2:3], v8, s18, 0
	s_load_dwordx2 s[2:3], s[12:13], 0x0
	v_mul_lo_u32 v1, v9, s18
	v_mul_lo_u32 v5, v8, s19
	v_add3_u32 v1, v11, v5, v1
	v_sub_co_u32_e32 v5, vcc, v6, v10
	s_add_u32 s14, s14, 1
	s_nop 0
	v_subb_co_u32_e32 v1, vcc, v7, v1, vcc
	s_addc_u32 s15, s15, 0
	s_waitcnt lgkmcnt(0)
	v_mul_lo_u32 v1, s2, v1
	v_mul_lo_u32 v6, s3, v5
	v_mad_u64_u32 v[2:3], s[2:3], s2, v5, v[2:3]
	s_add_u32 s12, s12, 8
	v_add3_u32 v3, v6, v3, v1
	s_addc_u32 s13, s13, 0
	v_mov_b64_e32 v[6:7], s[6:7]
	s_add_u32 s16, s16, 8
	v_cmp_ge_u64_e32 vcc, s[14:15], v[6:7]
	s_addc_u32 s17, s17, 0
	s_cbranch_vccnz .LBB0_9
; %bb.7:                                ;   in Loop: Header=BB0_2 Depth=1
	v_mov_b64_e32 v[6:7], v[8:9]
	s_branch .LBB0_2
.LBB0_8:
	v_mov_b64_e32 v[8:9], v[6:7]
.LBB0_9:
	s_lshl_b64 s[2:3], s[6:7], 3
	s_add_u32 s2, s10, s2
	s_addc_u32 s3, s11, s3
	s_load_dwordx2 s[6:7], s[2:3], 0x0
	s_load_dwordx2 s[10:11], s[0:1], 0x20
	s_mov_b32 s2, 0x4104105
	s_waitcnt lgkmcnt(0)
	v_mul_lo_u32 v1, s6, v9
	v_mul_lo_u32 v4, s7, v8
	v_mad_u64_u32 v[2:3], s[0:1], s6, v8, v[2:3]
	v_add3_u32 v3, v4, v3, v1
	v_mul_hi_u32 v1, v0, s2
	v_mul_u32_u24_e32 v1, 63, v1
	v_sub_u32_e32 v34, v0, v1
	v_cmp_gt_u64_e64 s[0:1], s[10:11], v[8:9]
	v_cmp_le_u64_e32 vcc, s[10:11], v[8:9]
	v_add_u32_e32 v38, 63, v34
	s_and_saveexec_b64 s[2:3], vcc
	s_xor_b64 s[2:3], exec, s[2:3]
; %bb.10:
	v_add_u32_e32 v38, 63, v34
; %bb.11:
	s_or_saveexec_b64 s[2:3], s[2:3]
	v_lshl_add_u64 v[36:37], v[2:3], 3, s[8:9]
	v_lshl_add_u32 v40, v34, 3, 0
	s_xor_b64 exec, exec, s[2:3]
	s_cbranch_execz .LBB0_13
; %bb.12:
	v_mov_b32_e32 v35, 0
	v_lshl_add_u64 v[0:1], v[34:35], 3, v[36:37]
	v_add_co_u32_e32 v18, vcc, 0x1000, v0
	global_load_dwordx2 v[2:3], v[0:1], off
	global_load_dwordx2 v[4:5], v[0:1], off offset:504
	global_load_dwordx2 v[6:7], v[0:1], off offset:1008
	;; [unrolled: 1-line block ×7, first 2 shown]
	v_addc_co_u32_e32 v19, vcc, 0, v1, vcc
	global_load_dwordx2 v[20:21], v[0:1], off offset:4032
	global_load_dwordx2 v[22:23], v[18:19], off offset:440
	;; [unrolled: 1-line block ×6, first 2 shown]
	v_add_u32_e32 v0, 0x400, v40
	v_add_u32_e32 v1, 0x800, v40
	;; [unrolled: 1-line block ×5, first 2 shown]
	s_waitcnt vmcnt(12)
	ds_write2_b64 v40, v[2:3], v[4:5] offset1:63
	s_waitcnt vmcnt(10)
	ds_write2_b64 v40, v[6:7], v[8:9] offset0:126 offset1:189
	s_waitcnt vmcnt(8)
	ds_write2_b64 v0, v[10:11], v[12:13] offset0:124 offset1:187
	;; [unrolled: 2-line block ×6, first 2 shown]
.LBB0_13:
	s_or_b64 exec, exec, s[2:3]
	v_add_u32_e32 v39, 0x400, v40
	s_waitcnt lgkmcnt(0)
	; wave barrier
	s_waitcnt lgkmcnt(0)
	ds_read2_b64 v[2:5], v40 offset0:98 offset1:161
	ds_read2_b64 v[14:17], v39 offset0:68 offset1:131
	v_add_u32_e32 v41, 0x800, v40
	v_add_u32_e32 v0, 0x1800, v40
	ds_read2_b64 v[10:13], v41 offset0:38 offset1:101
	ds_read2_b64 v[6:9], v41 offset0:136 offset1:199
	v_add_u32_e32 v35, 0x1000, v40
	ds_read2_b64 v[30:33], v0 offset0:16 offset1:79
	ds_read2_b64 v[26:29], v35 offset0:174 offset1:237
	;; [unrolled: 1-line block ×3, first 2 shown]
	v_add_u32_e32 v42, 0xc00, v40
	ds_read2_b64 v[18:21], v42 offset0:106 offset1:169
	s_waitcnt lgkmcnt(7)
	v_mov_b32_e32 v0, v3
	s_waitcnt lgkmcnt(6)
	v_mov_b32_e32 v1, v14
	;; [unrolled: 2-line block ×4, first 2 shown]
	s_mov_b32 s14, 0x3f248dbb
	v_pk_add_f32 v[44:45], v[2:3], v[30:31]
	v_pk_add_f32 v[52:53], v[0:1], v[52:53] neg_lo:[0,1] neg_hi:[0,1]
	v_mov_b32_e32 v0, v15
	v_mov_b32_e32 v1, v2
	;; [unrolled: 1-line block ×4, first 2 shown]
	s_mov_b32 s15, 0x3f7c1c5c
	v_pk_add_f32 v[46:47], v[14:15], v[26:27]
	v_pk_add_f32 v[14:15], v[0:1], v[2:3] neg_lo:[0,1] neg_hi:[0,1]
	s_waitcnt lgkmcnt(1)
	v_pk_add_f32 v[0:1], v[10:11], v[22:23] neg_lo:[0,1] neg_hi:[0,1]
	s_mov_b32 s6, 0x3f5db3d7
	s_mov_b32 s16, s15
	;; [unrolled: 1-line block ×3, first 2 shown]
	v_pk_add_f32 v[48:49], v[10:11], v[22:23]
	v_pk_mul_f32 v[10:11], v[0:1], s[6:7] op_sel_hi:[1,0]
	v_pk_mul_f32 v[0:1], v[14:15], s[16:17]
	s_waitcnt lgkmcnt(0)
	v_pk_add_f32 v[22:23], v[6:7], v[18:19] neg_lo:[0,1] neg_hi:[0,1]
	v_pk_fma_f32 v[0:1], v[52:53], s[14:15], v[0:1]
	s_mov_b32 s2, 0x3eaf1d44
	v_pk_add_f32 v[50:51], v[46:47], v[44:45]
	v_pk_add_f32 v[0:1], v[10:11], v[0:1] op_sel:[1,0] op_sel_hi:[0,1]
	v_pk_mul_f32 v[2:3], v[22:23], s[2:3] op_sel_hi:[1,0]
	s_mov_b32 s10, 0x3f441b7d
	v_pk_add_f32 v[26:27], v[2:3], v[0:1] op_sel:[1,0] op_sel_hi:[0,1]
	v_pk_add_f32 v[0:1], v[48:49], v[50:51]
	s_mov_b32 s8, 0x3e31d0d4
	v_pk_add_f32 v[0:1], v[6:7], v[0:1]
	s_mov_b32 s12, 0x3f708fb2
	v_pk_add_f32 v[30:31], v[18:19], v[0:1]
	ds_read2_b64 v[0:3], v40 offset1:63
	v_pk_add_f32 v[18:19], v[6:7], v[18:19]
	v_mov_b32_e32 v58, v15
	v_mov_b32_e32 v59, v52
	s_waitcnt lgkmcnt(0)
	v_pk_fma_f32 v[54:55], v[44:45], s[10:11], v[0:1] op_sel_hi:[1,0,1]
	v_pk_add_f32 v[30:31], v[30:31], v[0:1]
	v_pk_fma_f32 v[54:55], v[46:47], s[8:9], v[54:55] op_sel_hi:[1,0,1]
	; wave barrier
	s_nop 0
	v_pk_fma_f32 v[54:55], v[48:49], 0.5, v[54:55] op_sel_hi:[1,0,1] neg_lo:[1,0,0] neg_hi:[1,0,0]
	v_pk_add_f32 v[50:51], v[18:19], v[50:51]
	v_pk_fma_f32 v[6:7], v[18:19], s[12:13], v[54:55] op_sel_hi:[1,0,1] neg_lo:[1,0,0] neg_hi:[1,0,0]
	s_mov_b32 s20, s15
	v_pk_add_f32 v[54:55], v[6:7], v[26:27] neg_lo:[0,1] neg_hi:[0,1]
	v_pk_add_f32 v[56:57], v[6:7], v[26:27]
	v_lshlrev_b32_e32 v6, 6, v34
	v_mov_b32_e32 v56, v54
	v_add_u32_e32 v7, v40, v6
	ds_write2_b64 v7, v[30:31], v[56:57] offset1:1
	v_mov_b32_e32 v55, v57
	v_mov_b32_e32 v30, v52
	;; [unrolled: 1-line block ×7, first 2 shown]
	v_pk_add_f32 v[14:15], v[22:23], v[58:59]
	v_pk_fma_f32 v[58:59], v[18:19], s[10:11], v[0:1] op_sel_hi:[1,0,1]
	v_pk_add_f32 v[14:15], v[14:15], v[52:53] neg_lo:[0,1] neg_hi:[0,1]
	v_pk_add_f32 v[52:53], v[48:49], v[0:1]
	s_mov_b32 s18, 0xbf248dbb
	v_pk_fma_f32 v[50:51], v[50:51], 0.5, v[52:53] op_sel_hi:[1,0,1] neg_lo:[1,0,0] neg_hi:[1,0,0]
	v_pk_mul_f32 v[52:53], v[22:23], s[14:15] op_sel_hi:[1,0]
	v_pk_mul_f32 v[22:23], v[22:23], s[20:21] op_sel_hi:[1,0]
	v_pk_fma_f32 v[0:1], v[46:47], s[10:11], v[0:1] op_sel_hi:[1,0,1]
	v_pk_fma_f32 v[52:53], v[30:31], s[20:21], v[52:53] op_sel:[0,0,1] op_sel_hi:[1,0,0] neg_lo:[0,0,1] neg_hi:[0,0,1]
	v_pk_fma_f32 v[22:23], v[56:57], s[18:19], v[22:23] op_sel:[0,0,1] op_sel_hi:[1,0,0] neg_lo:[0,0,1] neg_hi:[0,0,1]
	v_pk_fma_f32 v[0:1], v[18:19], s[8:9], v[0:1] op_sel_hi:[1,0,1]
	v_pk_add_f32 v[52:53], v[52:53], v[10:11] op_sel:[0,1] op_sel_hi:[1,0] neg_lo:[0,1] neg_hi:[0,1]
	v_pk_add_f32 v[10:11], v[10:11], v[22:23] op_sel:[1,0] op_sel_hi:[0,1]
	v_pk_fma_f32 v[0:1], v[48:49], 0.5, v[0:1] op_sel_hi:[1,0,1] neg_lo:[1,0,0] neg_hi:[1,0,0]
	v_pk_fma_f32 v[58:59], v[44:45], s[8:9], v[58:59] op_sel_hi:[1,0,1]
	v_pk_mul_f32 v[14:15], v[14:15], s[6:7] op_sel_hi:[1,0]
	v_pk_fma_f32 v[10:11], v[30:31], s[2:3], v[10:11] op_sel_hi:[1,0,1]
	v_pk_fma_f32 v[0:1], v[44:45], s[12:13], v[0:1] op_sel_hi:[1,0,1] neg_lo:[1,0,0] neg_hi:[1,0,0]
	v_pk_fma_f32 v[58:59], v[48:49], 0.5, v[58:59] op_sel_hi:[1,0,1] neg_lo:[1,0,0] neg_hi:[1,0,0]
	v_pk_add_f32 v[62:63], v[50:51], v[14:15] op_sel:[0,1] op_sel_hi:[1,0] neg_lo:[0,1] neg_hi:[0,1]
	v_pk_add_f32 v[50:51], v[50:51], v[14:15] op_sel:[0,1] op_sel_hi:[1,0]
	v_pk_add_f32 v[18:19], v[0:1], v[10:11] neg_lo:[0,1] neg_hi:[0,1]
	v_pk_add_f32 v[0:1], v[0:1], v[10:11]
	v_pk_fma_f32 v[52:53], v[56:57], s[2:3], v[52:53] op_sel_hi:[1,0,1]
	v_pk_fma_f32 v[58:59], v[46:47], s[12:13], v[58:59] op_sel_hi:[1,0,1] neg_lo:[1,0,0] neg_hi:[1,0,0]
	v_mov_b32_e32 v63, v51
	v_mov_b32_e32 v19, v1
	v_pk_add_f32 v[60:61], v[58:59], v[52:53] neg_lo:[0,1] neg_hi:[0,1]
	v_pk_add_f32 v[58:59], v[58:59], v[52:53]
	ds_write_b64 v7, v[18:19] offset:32
	v_pk_fma_f32 v[0:1], v[10:11], 2.0, v[18:19] op_sel_hi:[1,0,1]
	v_pk_fma_f32 v[10:11], v[10:11], 2.0, v[18:19] op_sel_hi:[1,0,1] neg_lo:[1,0,0] neg_hi:[1,0,0]
	v_pk_fma_f32 v[18:19], v[14:15], 2.0, v[62:63] op_sel:[1,0,0] op_sel_hi:[0,0,1]
	v_pk_fma_f32 v[14:15], v[14:15], 2.0, v[62:63] op_sel:[1,0,0] op_sel_hi:[0,0,1] neg_lo:[1,0,0] neg_hi:[1,0,0]
	v_mov_b32_e32 v61, v59
	v_mov_b32_e32 v1, v11
	;; [unrolled: 1-line block ×3, first 2 shown]
	ds_write2_b64 v7, v[0:1], v[18:19] offset0:5 offset1:6
	v_pk_fma_f32 v[0:1], v[52:53], 2.0, v[60:61] op_sel_hi:[1,0,1]
	v_pk_fma_f32 v[10:11], v[26:27], 2.0, v[54:55] op_sel_hi:[1,0,1]
	v_pk_fma_f32 v[14:15], v[52:53], 2.0, v[60:61] op_sel_hi:[1,0,1] neg_lo:[1,0,0] neg_hi:[1,0,0]
	v_pk_fma_f32 v[18:19], v[26:27], 2.0, v[54:55] op_sel_hi:[1,0,1] neg_lo:[1,0,0] neg_hi:[1,0,0]
	v_mov_b32_e32 v58, v60
	v_mov_b32_e32 v50, v62
	s_movk_i32 s3, 0x1000
	v_mov_b32_e32 v1, v15
	v_mov_b32_e32 v11, v19
	v_cmp_gt_u32_e32 vcc, 35, v34
	ds_write2_b64 v7, v[58:59], v[50:51] offset0:2 offset1:3
	ds_write2_b64 v7, v[0:1], v[10:11] offset0:7 offset1:8
	s_and_saveexec_b64 s[20:21], vcc
	s_cbranch_execz .LBB0_15
; %bb.14:
	v_pk_add_f32 v[0:1], v[16:17], v[28:29]
	v_pk_add_f32 v[14:15], v[4:5], v[32:33]
	;; [unrolled: 1-line block ×4, first 2 shown]
	v_mov_b32_e32 v26, v17
	v_pk_add_f32 v[22:23], v[10:11], v[18:19]
	v_mov_b32_e32 v27, v4
	v_mov_b32_e32 v30, v29
	;; [unrolled: 1-line block ×3, first 2 shown]
	v_pk_add_f32 v[22:23], v[8:9], v[22:23]
	v_pk_add_f32 v[26:27], v[26:27], v[30:31] neg_lo:[0,1] neg_hi:[0,1]
	v_mov_b32_e32 v4, v5
	v_mov_b32_e32 v5, v16
	;; [unrolled: 1-line block ×4, first 2 shown]
	s_movk_i32 s7, 0x48
	v_pk_add_f32 v[22:23], v[20:21], v[22:23]
	v_pk_add_f32 v[4:5], v[4:5], v[16:17] neg_lo:[0,1] neg_hi:[0,1]
	v_pk_add_f32 v[16:17], v[8:9], v[20:21] neg_lo:[0,1] neg_hi:[0,1]
	;; [unrolled: 1-line block ×3, first 2 shown]
	v_pk_add_f32 v[8:9], v[8:9], v[20:21]
	v_pk_mul_f32 v[20:21], v[26:27], s[16:17]
	v_pk_mul_f32 v[12:13], v[12:13], s[6:7] op_sel_hi:[1,0]
	v_pk_fma_f32 v[20:21], v[4:5], s[14:15], v[20:21]
	v_pk_mul_f32 v[24:25], v[16:17], s[2:3] op_sel_hi:[1,0]
	v_pk_add_f32 v[20:21], v[12:13], v[20:21] op_sel:[1,0] op_sel_hi:[0,1]
	v_pk_add_f32 v[20:21], v[24:25], v[20:21] op_sel:[1,0] op_sel_hi:[0,1]
	v_pk_fma_f32 v[24:25], v[14:15], s[10:11], v[2:3] op_sel_hi:[1,0,1]
	v_pk_fma_f32 v[32:33], v[8:9], s[10:11], v[2:3] op_sel_hi:[1,0,1]
	;; [unrolled: 1-line block ×4, first 2 shown]
	v_pk_fma_f32 v[24:25], v[10:11], 0.5, v[24:25] op_sel_hi:[1,0,1] neg_lo:[1,0,0] neg_hi:[1,0,0]
	v_mad_i32_i24 v43, v38, s7, 0
	v_pk_fma_f32 v[24:25], v[8:9], s[12:13], v[24:25] op_sel_hi:[1,0,1] neg_lo:[1,0,0] neg_hi:[1,0,0]
	v_pk_add_f32 v[22:23], v[22:23], v[2:3]
	v_pk_add_f32 v[28:29], v[24:25], v[20:21] neg_lo:[0,1] neg_hi:[0,1]
	v_pk_add_f32 v[24:25], v[24:25], v[20:21]
	s_mov_b32 s16, s15
	v_mov_b32_e32 v24, v28
	v_pk_fma_f32 v[32:33], v[10:11], 0.5, v[32:33] op_sel_hi:[1,0,1] neg_lo:[1,0,0] neg_hi:[1,0,0]
	ds_write2_b64 v43, v[22:23], v[24:25] offset1:1
	v_mov_b32_e32 v22, v26
	v_mov_b32_e32 v23, v5
	v_pk_fma_f32 v[32:33], v[0:1], s[12:13], v[32:33] op_sel_hi:[1,0,1] neg_lo:[1,0,0] neg_hi:[1,0,0]
	v_pk_add_f32 v[46:47], v[10:11], v[2:3]
	v_mov_b32_e32 v48, v27
	v_mov_b32_e32 v49, v4
	v_pk_fma_f32 v[0:1], v[0:1], s[10:11], v[2:3] op_sel_hi:[1,0,1]
	v_pk_mul_f32 v[2:3], v[16:17], s[16:17] op_sel_hi:[1,0]
	v_mov_b32_e32 v24, v4
	v_pk_add_f32 v[48:49], v[16:17], v[48:49]
	v_mov_b32_e32 v4, v5
	v_mov_b32_e32 v5, v26
	v_pk_fma_f32 v[2:3], v[22:23], s[18:19], v[2:3] op_sel:[0,0,1] op_sel_hi:[1,0,0] neg_lo:[0,0,1] neg_hi:[0,0,1]
	v_pk_fma_f32 v[0:1], v[8:9], s[8:9], v[0:1] op_sel_hi:[1,0,1]
	v_mov_b32_e32 v29, v25
	v_mov_b32_e32 v25, v27
	v_pk_mul_f32 v[30:31], v[16:17], s[14:15] op_sel_hi:[1,0]
	v_pk_add_f32 v[4:5], v[48:49], v[4:5] neg_lo:[0,1] neg_hi:[0,1]
	v_pk_add_f32 v[18:19], v[8:9], v[18:19]
	v_pk_add_f32 v[2:3], v[12:13], v[2:3] op_sel:[1,0] op_sel_hi:[0,1]
	v_pk_fma_f32 v[0:1], v[10:11], 0.5, v[0:1] op_sel_hi:[1,0,1] neg_lo:[1,0,0] neg_hi:[1,0,0]
	v_pk_fma_f32 v[30:31], v[24:25], s[16:17], v[30:31] op_sel:[0,0,1] op_sel_hi:[1,0,0] neg_lo:[0,0,1] neg_hi:[0,0,1]
	v_pk_mul_f32 v[4:5], v[4:5], s[6:7] op_sel_hi:[1,0]
	v_pk_fma_f32 v[18:19], v[18:19], 0.5, v[46:47] op_sel_hi:[1,0,1] neg_lo:[1,0,0] neg_hi:[1,0,0]
	v_pk_fma_f32 v[2:3], v[24:25], s[2:3], v[2:3] op_sel_hi:[1,0,1]
	v_pk_fma_f32 v[0:1], v[14:15], s[12:13], v[0:1] op_sel_hi:[1,0,1] neg_lo:[1,0,0] neg_hi:[1,0,0]
	v_pk_add_f32 v[30:31], v[30:31], v[12:13] op_sel:[0,1] op_sel_hi:[1,0] neg_lo:[0,1] neg_hi:[0,1]
	v_pk_add_f32 v[26:27], v[18:19], v[4:5] op_sel:[0,1] op_sel_hi:[1,0] neg_lo:[0,1] neg_hi:[0,1]
	v_pk_add_f32 v[18:19], v[18:19], v[4:5] op_sel:[0,1] op_sel_hi:[1,0]
	v_pk_add_f32 v[8:9], v[0:1], v[2:3] neg_lo:[0,1] neg_hi:[0,1]
	v_pk_add_f32 v[0:1], v[0:1], v[2:3]
	v_pk_fma_f32 v[30:31], v[22:23], s[2:3], v[30:31] op_sel_hi:[1,0,1]
	v_mov_b32_e32 v27, v19
	v_mov_b32_e32 v9, v1
	v_pk_add_f32 v[44:45], v[32:33], v[30:31] neg_lo:[0,1] neg_hi:[0,1]
	v_pk_add_f32 v[32:33], v[32:33], v[30:31]
	v_pk_fma_f32 v[0:1], v[2:3], 2.0, v[8:9] op_sel_hi:[1,0,1]
	v_pk_fma_f32 v[10:11], v[4:5], 2.0, v[26:27] op_sel:[1,0,0] op_sel_hi:[0,0,1]
	v_pk_fma_f32 v[2:3], v[2:3], 2.0, v[8:9] op_sel_hi:[1,0,1] neg_lo:[1,0,0] neg_hi:[1,0,0]
	v_pk_fma_f32 v[4:5], v[4:5], 2.0, v[26:27] op_sel:[1,0,0] op_sel_hi:[0,0,1] neg_lo:[1,0,0] neg_hi:[1,0,0]
	v_mov_b32_e32 v45, v33
	v_mov_b32_e32 v1, v3
	;; [unrolled: 1-line block ×3, first 2 shown]
	ds_write_b64 v43, v[8:9] offset:32
	ds_write2_b64 v43, v[0:1], v[10:11] offset0:5 offset1:6
	v_pk_fma_f32 v[0:1], v[30:31], 2.0, v[44:45] op_sel_hi:[1,0,1]
	v_pk_fma_f32 v[2:3], v[20:21], 2.0, v[28:29] op_sel_hi:[1,0,1]
	v_pk_fma_f32 v[4:5], v[30:31], 2.0, v[44:45] op_sel_hi:[1,0,1] neg_lo:[1,0,0] neg_hi:[1,0,0]
	v_pk_fma_f32 v[8:9], v[20:21], 2.0, v[28:29] op_sel_hi:[1,0,1] neg_lo:[1,0,0] neg_hi:[1,0,0]
	v_mov_b32_e32 v32, v44
	v_mov_b32_e32 v18, v26
	;; [unrolled: 1-line block ×4, first 2 shown]
	ds_write2_b64 v43, v[32:33], v[18:19] offset0:2 offset1:3
	ds_write2_b64 v43, v[0:1], v[2:3] offset0:7 offset1:8
.LBB0_15:
	s_or_b64 exec, exec, s[20:21]
	v_mov_b32_e32 v4, 57
	v_mul_lo_u16_sdwa v0, v34, v4 dst_sel:DWORD dst_unused:UNUSED_PAD src0_sel:BYTE_0 src1_sel:DWORD
	v_lshrrev_b16_e32 v43, 9, v0
	v_mul_lo_u16_e32 v0, 9, v43
	v_mov_b32_e32 v5, 6
	v_sub_u16_e32 v72, v34, v0
	v_mul_lo_u16_sdwa v4, v38, v4 dst_sel:DWORD dst_unused:UNUSED_PAD src0_sel:BYTE_0 src1_sel:DWORD
	v_mul_u32_u24_sdwa v0, v72, v5 dst_sel:DWORD dst_unused:UNUSED_PAD src0_sel:BYTE_0 src1_sel:DWORD
	v_lshrrev_b16_e32 v76, 9, v4
	v_lshlrev_b32_e32 v20, 3, v0
	v_mul_lo_u16_e32 v4, 9, v76
	s_waitcnt lgkmcnt(0)
	; wave barrier
	s_waitcnt lgkmcnt(0)
	global_load_dwordx4 v[0:3], v20, s[4:5]
	v_sub_u16_e32 v77, v38, v4
	v_mul_u32_u24_sdwa v4, v77, v5 dst_sel:DWORD dst_unused:UNUSED_PAD src0_sel:BYTE_0 src1_sel:DWORD
	v_lshlrev_b32_e32 v62, 3, v4
	global_load_dwordx4 v[8:11], v62, s[4:5] offset:32
	global_load_dwordx4 v[12:15], v20, s[4:5] offset:32
	;; [unrolled: 1-line block ×3, first 2 shown]
	v_sub_u32_e32 v21, v7, v6
	v_add_u32_e32 v20, 0x1400, v40
	ds_read2_b64 v[4:7], v21 offset0:126 offset1:252
	ds_read2_b64 v[22:25], v35 offset0:118 offset1:181
	;; [unrolled: 1-line block ×3, first 2 shown]
	s_mov_b32 s14, 0x3f08b237
	s_mov_b32 s10, 0x3d64c772
	s_waitcnt lgkmcnt(2)
	v_mov_b32_e32 v30, v5
	v_mov_b32_e32 v32, v7
	s_mov_b32 s15, 0xbeae86e6
	s_mov_b32 s11, 0x3f4a47b2
	;; [unrolled: 1-line block ×10, first 2 shown]
	s_waitcnt vmcnt(3)
	v_pk_mul_f32 v[44:45], v[0:1], v[4:5] op_sel_hi:[1,0]
	v_pk_mul_f32 v[46:47], v[2:3], v[6:7] op_sel_hi:[1,0]
	v_pk_fma_f32 v[30:31], v[0:1], v[30:31], v[44:45] op_sel:[0,0,1] op_sel_hi:[1,1,0] neg_lo:[0,0,1] neg_hi:[0,0,1]
	v_pk_fma_f32 v[44:45], v[0:1], v[4:5], v[44:45] op_sel:[0,1,1] op_sel_hi:[1,1,0]
	v_pk_fma_f32 v[48:49], v[2:3], v[6:7], v[46:47] op_sel:[0,1,1] op_sel_hi:[1,1,0]
	s_waitcnt lgkmcnt(1)
	v_mov_b32_e32 v0, v25
	v_pk_fma_f32 v[32:33], v[2:3], v[32:33], v[46:47] op_sel:[0,0,1] op_sel_hi:[1,1,0] neg_lo:[0,0,1] neg_hi:[0,0,1]
	s_waitcnt lgkmcnt(0)
	v_mov_b32_e32 v2, v29
	s_waitcnt vmcnt(2)
	v_pk_mul_f32 v[4:5], v[24:25], v[8:9] op_sel_hi:[0,1]
	v_pk_mul_f32 v[6:7], v[28:29], v[10:11] op_sel_hi:[0,1]
	v_pk_fma_f32 v[46:47], v[0:1], v[8:9], v[4:5] op_sel:[0,0,1] op_sel_hi:[1,1,0] neg_lo:[0,0,1] neg_hi:[0,0,1]
	v_pk_fma_f32 v[8:9], v[24:25], v[8:9], v[4:5] op_sel:[1,0,1] op_sel_hi:[1,1,0]
	v_pk_fma_f32 v[24:25], v[2:3], v[10:11], v[6:7] op_sel:[0,0,1] op_sel_hi:[1,1,0] neg_lo:[0,0,1] neg_hi:[0,0,1]
	v_mov_b32_e32 v0, v23
	s_waitcnt vmcnt(1)
	v_pk_mul_f32 v[2:3], v[22:23], v[12:13] op_sel_hi:[0,1]
	v_pk_fma_f32 v[22:23], v[22:23], v[12:13], v[2:3] op_sel:[1,0,1] op_sel_hi:[1,1,0]
	v_pk_fma_f32 v[12:13], v[0:1], v[12:13], v[2:3] op_sel:[0,0,1] op_sel_hi:[1,1,0] neg_lo:[0,0,1] neg_hi:[0,0,1]
	ds_read_b64 v[2:3], v21 offset:3024
	v_mov_b32_e32 v4, v27
	v_pk_mul_f32 v[0:1], v[26:27], v[14:15] op_sel_hi:[0,1]
	v_pk_fma_f32 v[26:27], v[26:27], v[14:15], v[0:1] op_sel:[1,0,1] op_sel_hi:[1,1,0]
	v_pk_fma_f32 v[14:15], v[4:5], v[14:15], v[0:1] op_sel:[0,0,1] op_sel_hi:[1,1,0] neg_lo:[0,0,1] neg_hi:[0,0,1]
	s_waitcnt vmcnt(0) lgkmcnt(0)
	v_mul_f32_e32 v0, v17, v2
	v_mul_f32_e32 v22, v16, v2
	v_mul_f32_e32 v26, v17, v3
	v_fma_f32 v16, v16, v3, -v0
	ds_read2_b64 v[0:3], v42 offset0:120 offset1:183
	v_pk_fma_f32 v[10:11], v[28:29], v[10:11], v[6:7] op_sel:[1,0,1] op_sel_hi:[1,1,0]
	v_mov_b32_e32 v31, v45
	v_mov_b32_e32 v33, v49
	;; [unrolled: 1-line block ×3, first 2 shown]
	s_waitcnt lgkmcnt(0)
	v_mul_f32_e32 v4, v19, v0
	v_fma_f32 v28, v18, v1, -v4
	global_load_dwordx4 v[4:7], v62, s[4:5] offset:16
	v_mul_f32_e32 v18, v18, v0
	v_mul_f32_e32 v44, v19, v1
	v_mov_b32_e32 v15, v27
	v_mov_b32_e32 v19, v30
	;; [unrolled: 1-line block ×5, first 2 shown]
	v_pk_add_f32 v[18:19], v[18:19], v[44:45]
	v_mov_b32_e32 v25, v11
	v_mov_b32_e32 v29, v18
	;; [unrolled: 1-line block ×3, first 2 shown]
	s_waitcnt vmcnt(0)
	v_mov_b32_e32 v0, v7
	v_pk_mul_f32 v[50:51], v[2:3], v[0:1] op_sel:[1,0] op_sel_hi:[0,1]
	v_pk_mul_f32 v[0:1], v[2:3], v[6:7] op_sel:[1,0] op_sel_hi:[0,1]
	v_mov_b32_e32 v0, v1
	v_pk_fma_f32 v[52:53], v[2:3], v[6:7], v[0:1] op_sel:[1,0,0] op_sel_hi:[0,1,1] neg_lo:[0,0,1] neg_hi:[0,0,1]
	v_pk_mul_f32 v[54:55], v[2:3], v[6:7]
	ds_read2_b64 v[0:3], v41 offset0:59 offset1:185
	v_mov_b32_e32 v51, v24
	s_waitcnt lgkmcnt(0)
	v_pk_mul_f32 v[6:7], v[2:3], v[4:5] op_sel:[1,0] op_sel_hi:[0,1]
	v_mov_b32_e32 v6, v7
	v_pk_fma_f32 v[56:57], v[2:3], v[4:5], v[6:7] op_sel:[1,0,0] op_sel_hi:[0,1,1] neg_lo:[0,0,1] neg_hi:[0,0,1]
	v_pk_mul_f32 v[58:59], v[2:3], v[4:5]
	v_mov_b32_e32 v4, v5
	v_pk_mul_f32 v[60:61], v[2:3], v[4:5] op_sel:[1,0] op_sel_hi:[0,1]
	global_load_dwordx4 v[2:5], v62, s[4:5]
	v_mov_b32_e32 v6, v1
	v_mov_b32_e32 v61, v46
	s_waitcnt vmcnt(0)
	v_pk_mul_f32 v[62:63], v[0:1], v[4:5] op_sel_hi:[0,1]
	v_pk_fma_f32 v[0:1], v[0:1], v[4:5], v[62:63] op_sel:[1,0,1] op_sel_hi:[1,1,0]
	v_pk_fma_f32 v[62:63], v[6:7], v[4:5], v[62:63] op_sel:[0,0,1] op_sel_hi:[1,1,0] neg_lo:[0,0,1] neg_hi:[0,0,1]
	ds_read2_b64 v[4:7], v40 offset1:189
	v_mov_b32_e32 v63, v1
	v_mov_b32_e32 v59, v62
	v_pk_add_f32 v[8:9], v[62:63], v[46:47]
	v_pk_add_f32 v[10:11], v[62:63], v[46:47] neg_lo:[0,1] neg_hi:[0,1]
	s_waitcnt lgkmcnt(0)
	v_mov_b32_e32 v0, v7
	v_pk_mul_f32 v[64:65], v[6:7], v[2:3] op_sel_hi:[0,1]
	v_pk_fma_f32 v[66:67], v[0:1], v[2:3], v[64:65] op_sel:[0,0,1] op_sel_hi:[1,1,0] neg_lo:[0,0,1] neg_hi:[0,0,1]
	v_pk_fma_f32 v[2:3], v[6:7], v[2:3], v[64:65] op_sel:[1,0,1] op_sel_hi:[1,1,0]
	v_pk_add_f32 v[6:7], v[30:31], v[14:15]
	v_pk_add_f32 v[14:15], v[30:31], v[14:15] neg_lo:[0,1] neg_hi:[0,1]
	v_pk_add_f32 v[30:31], v[32:33], v[12:13]
	v_pk_add_f32 v[32:33], v[32:33], v[12:13] neg_lo:[0,1] neg_hi:[0,1]
	v_pk_add_f32 v[12:13], v[22:23], v[26:27]
	v_mov_b32_e32 v27, v15
	v_mov_b32_e32 v17, v12
	v_pk_add_f32 v[22:23], v[28:29], v[16:17] neg_lo:[0,1] neg_hi:[0,1]
	v_mov_b32_e32 v44, v32
	v_mov_b32_e32 v26, v22
	;; [unrolled: 1-line block ×7, first 2 shown]
	v_pk_add_f32 v[26:27], v[26:27], v[44:45] neg_lo:[0,1] neg_hi:[0,1]
	v_mov_b32_e32 v44, v14
	v_mov_b32_e32 v48, v22
	;; [unrolled: 1-line block ×3, first 2 shown]
	v_pk_add_f32 v[16:17], v[16:17], v[28:29]
	v_pk_add_f32 v[28:29], v[12:13], v[18:19]
	;; [unrolled: 1-line block ×3, first 2 shown]
	v_pk_add_f32 v[44:45], v[44:45], v[48:49] neg_lo:[0,1] neg_hi:[0,1]
	v_mov_b32_e32 v18, v28
	v_pk_add_f32 v[48:49], v[22:23], v[14:15]
	v_mov_b32_e32 v22, v31
	v_mov_b32_e32 v23, v17
	;; [unrolled: 1-line block ×3, first 2 shown]
	v_pk_add_f32 v[28:29], v[16:17], v[28:29]
	v_pk_add_f32 v[22:23], v[18:19], v[22:23] neg_lo:[0,1] neg_hi:[0,1]
	v_mov_b32_e32 v16, v7
	v_pk_add_f32 v[4:5], v[28:29], v[4:5]
	v_pk_mul_f32 v[26:27], v[26:27], s[14:15]
	v_pk_add_f32 v[16:17], v[16:17], v[12:13] neg_lo:[0,1] neg_hi:[0,1]
	v_pk_mul_f32 v[64:65], v[22:23], s[10:11]
	v_mov_b32_e32 v12, v31
	v_mov_b32_e32 v18, v7
	v_pk_fma_f32 v[28:29], v[28:29], s[8:9], v[4:5] op_sel_hi:[1,0,1] neg_lo:[1,0,0] neg_hi:[1,0,0]
	v_pk_fma_f32 v[22:23], v[16:17], s[12:13], v[64:65]
	v_pk_fma_f32 v[68:69], v[44:45], s[6:7], v[26:27]
	v_pk_add_f32 v[6:7], v[12:13], v[18:19] neg_lo:[0,1] neg_hi:[0,1]
	v_pk_mul_f32 v[12:13], v[44:45], s[6:7]
	v_pk_mul_f32 v[16:17], v[16:17], s[12:13]
	v_pk_add_f32 v[22:23], v[22:23], v[28:29]
	v_pk_fma_f32 v[68:69], v[48:49], s[2:3], v[68:69] op_sel_hi:[1,0,1]
	v_pk_add_f32 v[14:15], v[32:33], v[14:15] neg_lo:[0,1] neg_hi:[0,1]
	v_mov_b32_e32 v18, v16
	v_mov_b32_e32 v19, v65
	;; [unrolled: 1-line block ×5, first 2 shown]
	v_pk_add_f32 v[70:71], v[22:23], v[68:69]
	v_pk_add_f32 v[68:69], v[22:23], v[68:69] neg_lo:[0,1] neg_hi:[0,1]
	v_mov_b32_e32 v23, 3
	v_pk_fma_f32 v[18:19], v[6:7], s[18:19], v[18:19] op_sel_hi:[1,0,1] neg_lo:[1,0,1] neg_hi:[1,0,1]
	v_mov_b32_e32 v30, v12
	v_pk_fma_f32 v[6:7], v[6:7], s[18:19], v[64:65] op_sel_hi:[1,0,1] neg_lo:[0,0,1] neg_hi:[0,0,1]
	v_pk_fma_f32 v[12:13], v[14:15], s[16:17], v[26:27] op_sel_hi:[1,0,1] neg_lo:[0,0,1] neg_hi:[0,0,1]
	v_mul_u32_u24_e32 v0, 0x1f8, v43
	v_lshlrev_b32_sdwa v2, v23, v72 dst_sel:DWORD dst_unused:UNUSED_PAD src0_sel:DWORD src1_sel:BYTE_0
	v_mov_b32_e32 v67, v3
	v_pk_fma_f32 v[30:31], v[14:15], s[16:17], v[30:31] op_sel_hi:[1,0,1] neg_lo:[1,0,1] neg_hi:[1,0,1]
	v_pk_add_f32 v[6:7], v[6:7], v[28:29]
	v_pk_fma_f32 v[12:13], v[48:49], s[2:3], v[12:13] op_sel_hi:[1,0,1]
	v_add3_u32 v43, 0, v0, v2
	v_lshl_add_u32 v22, v38, 3, 0
	v_mov_b32_e32 v74, v70
	v_mov_b32_e32 v75, v69
	;; [unrolled: 1-line block ×3, first 2 shown]
	v_pk_add_f32 v[0:1], v[66:67], v[24:25]
	v_pk_add_f32 v[18:19], v[18:19], v[28:29]
	v_pk_fma_f32 v[30:31], v[48:49], s[2:3], v[30:31] op_sel_hi:[1,0,1]
	v_pk_add_f32 v[26:27], v[6:7], v[12:13] neg_lo:[0,1] neg_hi:[0,1]
	v_pk_add_f32 v[6:7], v[6:7], v[12:13]
	ds_read_b64 v[72:73], v22
	s_waitcnt lgkmcnt(0)
	; wave barrier
	s_waitcnt lgkmcnt(0)
	ds_write2_b64 v43, v[4:5], v[74:75] offset1:9
	v_pk_add_f32 v[2:3], v[66:67], v[24:25] neg_lo:[0,1] neg_hi:[0,1]
	v_pk_add_f32 v[4:5], v[54:55], v[50:51]
	v_pk_add_f32 v[24:25], v[58:59], v[60:61]
	;; [unrolled: 1-line block ×3, first 2 shown]
	v_pk_add_f32 v[18:19], v[18:19], v[30:31] neg_lo:[0,1] neg_hi:[0,1]
	v_mov_b32_e32 v13, v7
	v_lshlrev_b32_sdwa v0, v23, v77 dst_sel:DWORD dst_unused:UNUSED_PAD src0_sel:DWORD src1_sel:BYTE_0
	v_mul_u32_u24_e32 v7, 0x1f8, v76
	v_mov_b32_e32 v53, v4
	v_mov_b32_e32 v57, v24
	;; [unrolled: 1-line block ×3, first 2 shown]
	v_add3_u32 v23, 0, v7, v0
	v_mov_b32_e32 v7, v27
	v_mov_b32_e32 v19, v33
	v_pk_add_f32 v[14:15], v[52:53], v[56:57] neg_lo:[0,1] neg_hi:[0,1]
	v_mov_b32_e32 v16, v32
	v_mov_b32_e32 v12, v26
	ds_write2_b64 v43, v[6:7], v[18:19] offset0:36 offset1:45
	v_mov_b32_e32 v6, v9
	v_mov_b32_e32 v7, v56
	;; [unrolled: 1-line block ×4, first 2 shown]
	ds_write2_b64 v43, v[16:17], v[12:13] offset0:18 offset1:27
	v_mov_b32_e32 v12, v14
	v_mov_b32_e32 v13, v3
	;; [unrolled: 1-line block ×4, first 2 shown]
	v_pk_add_f32 v[6:7], v[6:7], v[18:19]
	v_pk_add_f32 v[18:19], v[24:25], v[4:5]
	v_pk_add_f32 v[12:13], v[12:13], v[16:17] neg_lo:[0,1] neg_hi:[0,1]
	v_mov_b32_e32 v16, v2
	v_mov_b32_e32 v28, v14
	v_mov_b32_e32 v29, v11
	v_mov_b32_e32 v4, v18
	v_mov_b32_e32 v26, v9
	v_mov_b32_e32 v27, v7
	v_mov_b32_e32 v30, v1
	v_mov_b32_e32 v31, v7
	v_mov_b32_e32 v24, v18
	v_pk_add_f32 v[16:17], v[16:17], v[28:29] neg_lo:[0,1] neg_hi:[0,1]
	v_pk_add_f32 v[26:27], v[4:5], v[26:27] neg_lo:[0,1] neg_hi:[0,1]
	;; [unrolled: 1-line block ×3, first 2 shown]
	v_pk_mul_f32 v[12:13], v[12:13], s[14:15]
	v_pk_mul_f32 v[28:29], v[16:17], s[6:7]
	v_pk_add_f32 v[14:15], v[14:15], v[10:11]
	v_pk_add_f32 v[6:7], v[6:7], v[18:19]
	v_pk_mul_f32 v[26:27], v[26:27], s[10:11]
	v_pk_mul_f32 v[32:33], v[30:31], s[12:13]
	v_mov_b32_e32 v24, v9
	v_mov_b32_e32 v4, v1
	v_pk_add_f32 v[14:15], v[14:15], v[2:3]
	v_pk_add_f32 v[18:19], v[6:7], v[72:73]
	v_pk_fma_f32 v[30:31], v[30:31], s[12:13], v[26:27]
	v_pk_fma_f32 v[16:17], v[16:17], s[6:7], v[12:13]
	v_pk_add_f32 v[2:3], v[10:11], v[2:3] neg_lo:[0,1] neg_hi:[0,1]
	v_pk_add_f32 v[0:1], v[24:25], v[4:5] neg_lo:[0,1] neg_hi:[0,1]
	v_mov_b32_e32 v4, v32
	v_mov_b32_e32 v5, v27
	;; [unrolled: 1-line block ×6, first 2 shown]
	v_pk_fma_f32 v[6:7], v[6:7], s[8:9], v[18:19] op_sel_hi:[1,0,1] neg_lo:[1,0,0] neg_hi:[1,0,0]
	v_pk_fma_f32 v[4:5], v[0:1], s[18:19], v[4:5] op_sel_hi:[1,0,1] neg_lo:[1,0,1] neg_hi:[1,0,1]
	;; [unrolled: 1-line block ×5, first 2 shown]
	v_pk_add_f32 v[4:5], v[4:5], v[6:7]
	v_pk_fma_f32 v[8:9], v[14:15], s[2:3], v[8:9] op_sel_hi:[1,0,1]
	v_pk_add_f32 v[0:1], v[0:1], v[6:7]
	v_pk_fma_f32 v[2:3], v[14:15], s[2:3], v[2:3] op_sel_hi:[1,0,1]
	v_pk_add_f32 v[30:31], v[30:31], v[6:7]
	v_pk_add_f32 v[10:11], v[4:5], v[8:9]
	v_pk_add_f32 v[4:5], v[4:5], v[8:9] neg_lo:[0,1] neg_hi:[0,1]
	v_pk_add_f32 v[6:7], v[0:1], v[2:3] neg_lo:[0,1] neg_hi:[0,1]
	v_pk_add_f32 v[0:1], v[0:1], v[2:3]
	v_mov_b32_e32 v69, v71
	v_pk_fma_f32 v[16:17], v[14:15], s[2:3], v[16:17] op_sel_hi:[1,0,1]
	v_mov_b32_e32 v9, v5
	v_mov_b32_e32 v3, v1
	v_mov_b32_e32 v1, v7
	v_mov_b32_e32 v5, v11
	ds_write_b64 v43, v[68:69] offset:432
	v_pk_add_f32 v[44:45], v[30:31], v[16:17]
	v_pk_add_f32 v[16:17], v[30:31], v[16:17] neg_lo:[0,1] neg_hi:[0,1]
	ds_write2_b64 v23, v[0:1], v[4:5] offset0:36 offset1:45
	v_mul_u32_u24_e32 v0, 6, v34
	v_mov_b32_e32 v30, v44
	v_mov_b32_e32 v31, v17
	v_mov_b32_e32 v8, v10
	v_mov_b32_e32 v2, v6
	v_mov_b32_e32 v17, v45
	v_lshlrev_b32_e32 v4, 3, v0
	ds_write2_b64 v23, v[18:19], v[30:31] offset1:9
	ds_write2_b64 v23, v[8:9], v[2:3] offset0:18 offset1:27
	ds_write_b64 v23, v[16:17] offset:432
	s_waitcnt lgkmcnt(0)
	; wave barrier
	s_waitcnt lgkmcnt(0)
	global_load_dwordx4 v[16:19], v4, s[4:5] offset:448
	global_load_dwordx4 v[8:11], v4, s[4:5] offset:432
	;; [unrolled: 1-line block ×3, first 2 shown]
	ds_read_b64 v[32:33], v21 offset:3024
	ds_read2_b64 v[24:27], v42 offset0:120 offset1:183
	ds_read2_b64 v[28:31], v21 offset0:126 offset1:252
	;; [unrolled: 1-line block ×4, first 2 shown]
	s_waitcnt lgkmcnt(2)
	v_mov_b32_e32 v48, v29
	s_waitcnt vmcnt(2)
	v_mul_f32_e32 v46, v18, v24
	s_waitcnt vmcnt(1)
	v_pk_mul_f32 v[50:51], v[8:9], v[28:29] op_sel_hi:[1,0]
	v_mul_f32_e32 v44, v16, v32
	v_pk_fma_f32 v[28:29], v[8:9], v[28:29], v[50:51] op_sel:[0,1,1] op_sel_hi:[1,1,0]
	v_pk_fma_f32 v[48:49], v[8:9], v[48:49], v[50:51] op_sel:[0,0,1] op_sel_hi:[1,1,0] neg_lo:[0,0,1] neg_hi:[0,0,1]
	v_mov_b32_e32 v28, v31
	v_pk_mul_f32 v[50:51], v[10:11], v[30:31] op_sel_hi:[1,0]
	v_mov_b32_e32 v49, v29
	v_pk_fma_f32 v[28:29], v[10:11], v[28:29], v[50:51] op_sel:[0,0,1] op_sel_hi:[1,1,0] neg_lo:[0,0,1] neg_hi:[0,0,1]
	v_pk_fma_f32 v[30:31], v[10:11], v[30:31], v[50:51] op_sel:[0,1,1] op_sel_hi:[1,1,0]
	s_waitcnt vmcnt(0) lgkmcnt(1)
	v_pk_mul_f32 v[50:51], v[0:1], v[12:13] op_sel_hi:[1,0]
	v_mov_b32_e32 v30, v13
	v_pk_fma_f32 v[12:13], v[0:1], v[12:13], v[50:51] op_sel:[0,1,1] op_sel_hi:[1,1,0]
	v_mov_b32_e32 v29, v31
	v_pk_fma_f32 v[30:31], v[0:1], v[30:31], v[50:51] op_sel:[0,0,1] op_sel_hi:[1,1,0] neg_lo:[0,0,1] neg_hi:[0,0,1]
	s_waitcnt lgkmcnt(0)
	v_mov_b32_e32 v12, v5
	v_pk_mul_f32 v[50:51], v[4:5], v[2:3] op_sel_hi:[0,1]
	v_mov_b32_e32 v31, v13
	v_pk_fma_f32 v[12:13], v[12:13], v[2:3], v[50:51] op_sel:[0,0,1] op_sel_hi:[1,1,0] neg_lo:[0,0,1] neg_hi:[0,0,1]
	v_pk_fma_f32 v[4:5], v[4:5], v[2:3], v[50:51] op_sel:[1,0,1] op_sel_hi:[1,1,0]
	v_mov_b32_e32 v47, v48
	v_mov_b32_e32 v13, v5
	v_pk_add_f32 v[4:5], v[48:49], v[12:13]
	v_pk_add_f32 v[48:49], v[48:49], v[12:13] neg_lo:[0,1] neg_hi:[0,1]
	v_mov_b32_e32 v13, v12
	v_mul_f32_e32 v12, v19, v25
	v_pk_add_f32 v[12:13], v[46:47], v[12:13]
	v_pk_add_f32 v[46:47], v[28:29], v[30:31]
	v_mov_b32_e32 v45, v28
	v_pk_add_f32 v[28:29], v[28:29], v[30:31] neg_lo:[0,1] neg_hi:[0,1]
	v_mov_b32_e32 v31, v30
	v_mul_f32_e32 v30, v17, v33
	v_mul_f32_e32 v4, v17, v32
	v_fma_f32 v32, v16, v33, -v4
	v_mul_f32_e32 v4, v19, v24
	v_pk_add_f32 v[30:31], v[44:45], v[30:31]
	v_fma_f32 v24, v18, v25, -v4
	v_mov_b32_e32 v25, v12
	v_mov_b32_e32 v33, v30
	v_pk_add_f32 v[44:45], v[24:25], v[32:33] neg_lo:[0,1] neg_hi:[0,1]
	v_mov_b32_e32 v51, v49
	v_mov_b32_e32 v50, v44
	;; [unrolled: 1-line block ×8, first 2 shown]
	v_pk_add_f32 v[50:51], v[50:51], v[52:53] neg_lo:[0,1] neg_hi:[0,1]
	v_mov_b32_e32 v52, v48
	v_mov_b32_e32 v54, v44
	;; [unrolled: 1-line block ×3, first 2 shown]
	v_pk_add_f32 v[24:25], v[32:33], v[24:25]
	v_pk_add_f32 v[32:33], v[44:45], v[28:29]
	v_pk_add_f32 v[44:45], v[28:29], v[48:49] neg_lo:[0,1] neg_hi:[0,1]
	v_pk_add_f32 v[28:29], v[30:31], v[12:13]
	v_pk_add_f32 v[52:53], v[52:53], v[54:55] neg_lo:[0,1] neg_hi:[0,1]
	v_pk_add_f32 v[32:33], v[32:33], v[48:49]
	v_mov_b32_e32 v12, v28
	v_mov_b32_e32 v48, v47
	;; [unrolled: 1-line block ×4, first 2 shown]
	v_pk_add_f32 v[54:55], v[24:25], v[28:29]
	v_mov_b32_e32 v24, v5
	v_pk_add_f32 v[24:25], v[24:25], v[30:31] neg_lo:[0,1] neg_hi:[0,1]
	v_mov_b32_e32 v30, v47
	v_pk_add_f32 v[28:29], v[12:13], v[48:49] neg_lo:[0,1] neg_hi:[0,1]
	;; [unrolled: 2-line block ×3, first 2 shown]
	v_pk_mul_f32 v[46:47], v[28:29], s[10:11]
	ds_read2_b64 v[28:31], v40 offset1:189
	v_pk_mul_f32 v[12:13], v[50:51], s[14:15]
	v_pk_mul_f32 v[50:51], v[24:25], s[12:13]
	;; [unrolled: 1-line block ×3, first 2 shown]
	v_mov_b32_e32 v59, v13
	s_waitcnt lgkmcnt(0)
	v_pk_add_f32 v[28:29], v[54:55], v[28:29]
	v_mov_b32_e32 v58, v56
	v_pk_fma_f32 v[48:49], v[54:55], s[8:9], v[28:29] op_sel_hi:[1,0,1] neg_lo:[1,0,0] neg_hi:[1,0,0]
	v_mov_b32_e32 v54, v50
	v_mov_b32_e32 v55, v47
	v_pk_fma_f32 v[24:25], v[24:25], s[12:13], v[46:47]
	v_mov_b32_e32 v47, v51
	v_pk_fma_f32 v[50:51], v[52:53], s[6:7], v[12:13]
	v_mov_b32_e32 v13, v57
	v_pk_fma_f32 v[54:55], v[4:5], s[18:19], v[54:55] op_sel_hi:[1,0,1] neg_lo:[1,0,1] neg_hi:[1,0,1]
	v_pk_fma_f32 v[58:59], v[44:45], s[16:17], v[58:59] op_sel_hi:[1,0,1] neg_lo:[1,0,1] neg_hi:[1,0,1]
	;; [unrolled: 1-line block ×4, first 2 shown]
	v_pk_add_f32 v[54:55], v[54:55], v[48:49]
	v_pk_fma_f32 v[58:59], v[32:33], s[2:3], v[58:59] op_sel_hi:[1,0,1]
	v_pk_add_f32 v[4:5], v[4:5], v[48:49]
	v_pk_fma_f32 v[12:13], v[32:33], s[2:3], v[12:13] op_sel_hi:[1,0,1]
	v_pk_add_f32 v[60:61], v[54:55], v[58:59]
	v_pk_add_f32 v[54:55], v[54:55], v[58:59] neg_lo:[0,1] neg_hi:[0,1]
	v_pk_add_f32 v[52:53], v[4:5], v[12:13] neg_lo:[0,1] neg_hi:[0,1]
	v_pk_add_f32 v[4:5], v[4:5], v[12:13]
	ds_read_b64 v[12:13], v22
	ds_read2_b64 v[44:47], v41 offset0:59 offset1:185
	v_mov_b32_e32 v57, v5
	v_mov_b32_e32 v5, v53
	;; [unrolled: 1-line block ×4, first 2 shown]
	s_waitcnt lgkmcnt(0)
	; wave barrier
	s_waitcnt lgkmcnt(0)
	ds_write2_b64 v39, v[4:5], v[54:55] offset0:124 offset1:187
	v_pk_add_f32 v[4:5], v[24:25], v[48:49]
	v_pk_fma_f32 v[24:25], v[32:33], s[2:3], v[50:51] op_sel_hi:[1,0,1]
	v_pk_mul_f32 v[50:51], v[30:31], v[8:9] op_sel_hi:[0,1]
	v_pk_add_f32 v[32:33], v[4:5], v[24:25]
	v_pk_add_f32 v[4:5], v[4:5], v[24:25] neg_lo:[0,1] neg_hi:[0,1]
	v_mov_b32_e32 v24, v32
	v_mov_b32_e32 v25, v5
	;; [unrolled: 1-line block ×3, first 2 shown]
	v_pk_fma_f32 v[30:31], v[30:31], v[8:9], v[50:51] op_sel:[1,0,1] op_sel_hi:[1,1,0]
	ds_write2_b64 v40, v[28:29], v[24:25] offset1:63
	v_pk_mul_f32 v[28:29], v[26:27], v[18:19] op_sel:[1,0] op_sel_hi:[0,1]
	v_mov_b32_e32 v5, v33
	v_pk_fma_f32 v[8:9], v[32:33], v[8:9], v[50:51] op_sel:[0,0,1] op_sel_hi:[1,1,0] neg_lo:[0,0,1] neg_hi:[0,0,1]
	v_mov_b32_e32 v30, v45
	v_pk_mul_f32 v[32:33], v[44:45], v[10:11] op_sel_hi:[0,1]
	v_mov_b32_e32 v24, v19
	v_mov_b32_e32 v28, v29
	;; [unrolled: 1-line block ×3, first 2 shown]
	v_pk_fma_f32 v[30:31], v[30:31], v[10:11], v[32:33] op_sel:[0,0,1] op_sel_hi:[1,1,0] neg_lo:[0,0,1] neg_hi:[0,0,1]
	v_pk_fma_f32 v[10:11], v[44:45], v[10:11], v[32:33] op_sel:[1,0,1] op_sel_hi:[1,1,0]
	v_pk_mul_f32 v[24:25], v[26:27], v[24:25] op_sel:[1,0] op_sel_hi:[0,1]
	v_pk_fma_f32 v[28:29], v[26:27], v[18:19], v[28:29] op_sel:[1,0,0] op_sel_hi:[0,1,1] neg_lo:[0,0,1] neg_hi:[0,0,1]
	v_pk_mul_f32 v[18:19], v[26:27], v[18:19]
	v_pk_mul_f32 v[26:27], v[46:47], v[16:17] op_sel:[1,0] op_sel_hi:[0,1]
	v_mov_b32_e32 v10, v15
	v_pk_mul_f32 v[32:33], v[14:15], v[0:1] op_sel_hi:[0,1]
	v_mov_b32_e32 v26, v27
	v_mov_b32_e32 v31, v11
	v_pk_fma_f32 v[10:11], v[10:11], v[0:1], v[32:33] op_sel:[0,0,1] op_sel_hi:[1,1,0] neg_lo:[0,0,1] neg_hi:[0,0,1]
	v_pk_fma_f32 v[0:1], v[14:15], v[0:1], v[32:33] op_sel:[1,0,1] op_sel_hi:[1,1,0]
	v_pk_fma_f32 v[26:27], v[46:47], v[16:17], v[26:27] op_sel:[1,0,0] op_sel_hi:[0,1,1] neg_lo:[0,0,1] neg_hi:[0,0,1]
	v_pk_mul_f32 v[48:49], v[46:47], v[16:17]
	v_mov_b32_e32 v16, v17
	v_mov_b32_e32 v0, v7
	v_pk_mul_f32 v[14:15], v[6:7], v[2:3] op_sel_hi:[0,1]
	v_pk_mul_f32 v[16:17], v[46:47], v[16:17] op_sel:[1,0] op_sel_hi:[0,1]
	v_mov_b32_e32 v11, v1
	v_pk_fma_f32 v[0:1], v[0:1], v[2:3], v[14:15] op_sel:[0,0,1] op_sel_hi:[1,1,0] neg_lo:[0,0,1] neg_hi:[0,0,1]
	v_pk_fma_f32 v[2:3], v[6:7], v[2:3], v[14:15] op_sel:[1,0,1] op_sel_hi:[1,1,0]
	v_mov_b32_e32 v19, v8
	v_mov_b32_e32 v1, v3
	;; [unrolled: 1-line block ×5, first 2 shown]
	v_pk_add_f32 v[2:3], v[8:9], v[0:1]
	v_pk_add_f32 v[6:7], v[8:9], v[0:1] neg_lo:[0,1] neg_hi:[0,1]
	v_pk_add_f32 v[0:1], v[18:19], v[24:25]
	v_pk_add_f32 v[8:9], v[48:49], v[16:17]
	;; [unrolled: 1-line block ×3, first 2 shown]
	v_mov_b32_e32 v29, v0
	v_mov_b32_e32 v27, v8
	v_pk_add_f32 v[32:33], v[30:31], v[10:11] neg_lo:[0,1] neg_hi:[0,1]
	v_pk_add_f32 v[10:11], v[28:29], v[26:27] neg_lo:[0,1] neg_hi:[0,1]
	v_mov_b32_e32 v30, v15
	v_mov_b32_e32 v31, v26
	;; [unrolled: 1-line block ×8, first 2 shown]
	v_pk_add_f32 v[26:27], v[30:31], v[26:27]
	v_pk_add_f32 v[28:29], v[8:9], v[0:1]
	v_pk_add_f32 v[16:17], v[16:17], v[18:19] neg_lo:[0,1] neg_hi:[0,1]
	v_mov_b32_e32 v18, v6
	v_mov_b32_e32 v24, v10
	;; [unrolled: 1-line block ×8, first 2 shown]
	v_pk_add_f32 v[18:19], v[18:19], v[24:25] neg_lo:[0,1] neg_hi:[0,1]
	v_pk_add_f32 v[30:31], v[0:1], v[30:31] neg_lo:[0,1] neg_hi:[0,1]
	;; [unrolled: 1-line block ×3, first 2 shown]
	v_pk_mul_f32 v[16:17], v[16:17], s[14:15]
	v_pk_mul_f32 v[24:25], v[18:19], s[6:7]
	v_pk_add_f32 v[10:11], v[10:11], v[32:33]
	v_pk_add_f32 v[26:27], v[26:27], v[28:29]
	v_pk_mul_f32 v[28:29], v[30:31], s[10:11]
	v_pk_mul_f32 v[30:31], v[44:45], s[12:13]
	v_mov_b32_e32 v8, v15
	v_mov_b32_e32 v0, v3
	v_pk_add_f32 v[10:11], v[10:11], v[6:7]
	v_pk_add_f32 v[12:13], v[26:27], v[12:13]
	v_pk_add_f32 v[6:7], v[32:33], v[6:7] neg_lo:[0,1] neg_hi:[0,1]
	v_pk_add_f32 v[0:1], v[8:9], v[0:1] neg_lo:[0,1] neg_hi:[0,1]
	v_mov_b32_e32 v2, v30
	v_mov_b32_e32 v3, v29
	;; [unrolled: 1-line block ×4, first 2 shown]
	v_pk_fma_f32 v[26:27], v[26:27], s[8:9], v[12:13] op_sel_hi:[1,0,1] neg_lo:[1,0,0] neg_hi:[1,0,0]
	v_pk_fma_f32 v[44:45], v[44:45], s[12:13], v[28:29]
	v_pk_fma_f32 v[18:19], v[18:19], s[6:7], v[16:17]
	v_pk_fma_f32 v[2:3], v[0:1], s[18:19], v[2:3] op_sel_hi:[1,0,1] neg_lo:[1,0,1] neg_hi:[1,0,1]
	v_pk_fma_f32 v[8:9], v[6:7], s[16:17], v[8:9] op_sel_hi:[1,0,1] neg_lo:[1,0,1] neg_hi:[1,0,1]
	v_pk_add_f32 v[44:45], v[44:45], v[26:27]
	v_pk_fma_f32 v[18:19], v[10:11], s[2:3], v[18:19] op_sel_hi:[1,0,1]
	v_pk_add_f32 v[2:3], v[2:3], v[26:27]
	v_pk_fma_f32 v[8:9], v[10:11], s[2:3], v[8:9] op_sel_hi:[1,0,1]
	v_pk_add_f32 v[46:47], v[44:45], v[18:19]
	v_pk_add_f32 v[18:19], v[44:45], v[18:19] neg_lo:[0,1] neg_hi:[0,1]
	ds_write2_b64 v41, v[4:5], v[12:13] offset0:122 offset1:185
	v_pk_add_f32 v[12:13], v[2:3], v[8:9]
	v_pk_add_f32 v[2:3], v[2:3], v[8:9] neg_lo:[0,1] neg_hi:[0,1]
	v_mov_b32_e32 v4, v46
	v_mov_b32_e32 v5, v19
	v_mov_b32_e32 v8, v12
	v_mov_b32_e32 v9, v3
	v_mov_b32_e32 v29, v31
	v_mov_b32_e32 v17, v25
	ds_write2_b64 v42, v[4:5], v[8:9] offset0:120 offset1:183
	v_pk_fma_f32 v[0:1], v[0:1], s[18:19], v[28:29] op_sel_hi:[1,0,1] neg_lo:[0,0,1] neg_hi:[0,0,1]
	v_pk_fma_f32 v[4:5], v[6:7], s[16:17], v[16:17] op_sel_hi:[1,0,1] neg_lo:[0,0,1] neg_hi:[0,0,1]
	v_pk_add_f32 v[0:1], v[0:1], v[26:27]
	v_pk_fma_f32 v[4:5], v[10:11], s[2:3], v[4:5] op_sel_hi:[1,0,1]
	v_mov_b32_e32 v58, v60
	v_pk_add_f32 v[6:7], v[0:1], v[4:5] neg_lo:[0,1] neg_hi:[0,1]
	v_pk_add_f32 v[0:1], v[0:1], v[4:5]
	v_mov_b32_e32 v4, v6
	v_mov_b32_e32 v5, v1
	;; [unrolled: 1-line block ×3, first 2 shown]
	ds_write2_b64 v35, v[4:5], v[0:1] offset0:118 offset1:181
	v_mov_b32_e32 v35, 0
	v_mov_b32_e32 v56, v52
	;; [unrolled: 1-line block ×4, first 2 shown]
	v_lshl_add_u64 v[0:1], v[34:35], 3, s[4:5]
	ds_write2_b64 v40, v[58:59], v[56:57] offset0:126 offset1:189
	ds_write2_b64 v20, v[2:3], v[18:19] offset0:116 offset1:179
	s_waitcnt lgkmcnt(0)
	; wave barrier
	s_waitcnt lgkmcnt(0)
	global_load_dwordx2 v[12:13], v[0:1], off offset:3456
	v_add_co_u32_e32 v0, vcc, s3, v0
	v_mov_b32_e32 v39, v35
	s_nop 0
	v_addc_co_u32_e32 v1, vcc, 0, v1, vcc
	global_load_dwordx2 v[16:17], v[0:1], off offset:368
	global_load_dwordx2 v[18:19], v[0:1], off offset:872
	;; [unrolled: 1-line block ×5, first 2 shown]
	v_lshl_add_u64 v[0:1], v[38:39], 3, s[4:5]
	global_load_dwordx2 v[30:31], v[0:1], off offset:3456
	ds_read2_b64 v[0:3], v41 offset0:59 offset1:185
	ds_read2_b64 v[4:7], v42 offset0:120 offset1:183
	ds_read_b64 v[32:33], v40 offset:5040
	ds_read2_b32 v[38:39], v20 offset0:106 offset1:107
	ds_read2_b64 v[8:11], v40 offset1:189
	s_waitcnt vmcnt(6) lgkmcnt(4)
	v_pk_mul_f32 v[14:15], v[12:13], v[2:3] op_sel:[0,1]
	s_nop 0
	v_pk_fma_f32 v[42:43], v[12:13], v[2:3], v[14:15] op_sel:[0,0,1] op_sel_hi:[1,1,0]
	v_pk_fma_f32 v[2:3], v[12:13], v[2:3], v[14:15] op_sel:[0,0,1] op_sel_hi:[1,0,0] neg_lo:[1,0,0] neg_hi:[1,0,0]
	ds_read2_b64 v[12:15], v21 offset0:126 offset1:252
	v_mov_b32_e32 v43, v3
	s_waitcnt lgkmcnt(1)
	v_pk_add_f32 v[2:3], v[8:9], v[42:43] neg_lo:[0,1] neg_hi:[0,1]
	s_nop 0
	v_pk_fma_f32 v[42:43], v[8:9], 2.0, v[2:3] op_sel_hi:[1,0,1] neg_lo:[0,0,1] neg_hi:[0,0,1]
	s_waitcnt vmcnt(5)
	v_pk_mul_f32 v[8:9], v[16:17], v[6:7] op_sel:[0,1]
	s_nop 0
	v_pk_fma_f32 v[44:45], v[16:17], v[6:7], v[8:9] op_sel:[0,0,1] op_sel_hi:[1,1,0]
	v_pk_fma_f32 v[6:7], v[16:17], v[6:7], v[8:9] op_sel:[0,0,1] op_sel_hi:[1,0,0] neg_lo:[1,0,0] neg_hi:[1,0,0]
	s_nop 0
	v_mov_b32_e32 v45, v7
	s_waitcnt vmcnt(4)
	v_pk_mul_f32 v[6:7], v[18:19], v[32:33] op_sel:[0,1]
	s_waitcnt lgkmcnt(0)
	v_pk_add_f32 v[16:17], v[12:13], v[44:45] neg_lo:[0,1] neg_hi:[0,1]
	v_pk_fma_f32 v[8:9], v[18:19], v[32:33], v[6:7] op_sel:[0,0,1] op_sel_hi:[1,1,0]
	v_pk_fma_f32 v[6:7], v[18:19], v[32:33], v[6:7] op_sel:[0,0,1] op_sel_hi:[1,0,0] neg_lo:[1,0,0] neg_hi:[1,0,0]
	v_pk_fma_f32 v[12:13], v[12:13], 2.0, v[16:17] op_sel_hi:[1,0,1] neg_lo:[0,0,1] neg_hi:[0,0,1]
	v_mov_b32_e32 v9, v7
	v_mov_b32_e32 v6, v39
	v_pk_add_f32 v[18:19], v[10:11], v[8:9] neg_lo:[0,1] neg_hi:[0,1]
	s_waitcnt vmcnt(3)
	v_pk_mul_f32 v[32:33], v[6:7], v[24:25] op_sel_hi:[0,1]
	ds_read2_b64 v[6:9], v20 offset0:116 offset1:179
	v_pk_fma_f32 v[44:45], v[24:25], v[38:39], v[32:33] op_sel:[0,0,1] op_sel_hi:[1,1,0]
	v_pk_fma_f32 v[24:25], v[24:25], v[38:39], v[32:33] op_sel:[0,0,1] op_sel_hi:[1,0,0] neg_lo:[1,0,0] neg_hi:[1,0,0]
	v_pk_fma_f32 v[10:11], v[10:11], 2.0, v[18:19] op_sel_hi:[1,0,1] neg_lo:[0,0,1] neg_hi:[0,0,1]
	v_mov_b32_e32 v45, v25
	s_waitcnt vmcnt(2) lgkmcnt(0)
	v_pk_mul_f32 v[32:33], v[6:7], v[26:27] op_sel:[0,1]
	v_pk_add_f32 v[24:25], v[14:15], v[44:45] neg_lo:[0,1] neg_hi:[0,1]
	v_pk_fma_f32 v[38:39], v[6:7], v[26:27], v[32:33] op_sel:[0,0,1] op_sel_hi:[1,1,0]
	v_pk_fma_f32 v[6:7], v[6:7], v[26:27], v[32:33] op_sel:[0,0,1] op_sel_hi:[1,0,0] neg_lo:[0,0,1] neg_hi:[0,0,1]
	ds_read_b64 v[32:33], v21 offset:3024
	v_mov_b32_e32 v39, v7
	s_waitcnt vmcnt(1)
	v_pk_mul_f32 v[26:27], v[8:9], v[28:29] op_sel:[0,1]
	v_pk_add_f32 v[6:7], v[0:1], v[38:39] neg_lo:[0,1] neg_hi:[0,1]
	v_pk_fma_f32 v[38:39], v[8:9], v[28:29], v[26:27] op_sel:[0,0,1] op_sel_hi:[1,1,0]
	v_pk_fma_f32 v[8:9], v[8:9], v[28:29], v[26:27] op_sel:[0,0,1] op_sel_hi:[1,0,0] neg_lo:[0,0,1] neg_hi:[0,0,1]
	v_pk_fma_f32 v[14:15], v[14:15], 2.0, v[24:25] op_sel_hi:[1,0,1] neg_lo:[0,0,1] neg_hi:[0,0,1]
	v_mov_b32_e32 v39, v9
	ds_read_b64 v[8:9], v22
	s_waitcnt lgkmcnt(1)
	v_pk_add_f32 v[26:27], v[32:33], v[38:39] neg_lo:[0,1] neg_hi:[0,1]
	v_pk_fma_f32 v[0:1], v[0:1], 2.0, v[6:7] op_sel_hi:[1,0,1] neg_lo:[0,0,1] neg_hi:[0,0,1]
	v_pk_fma_f32 v[28:29], v[32:33], 2.0, v[26:27] op_sel_hi:[1,0,1] neg_lo:[0,0,1] neg_hi:[0,0,1]
	s_waitcnt vmcnt(0)
	v_pk_mul_f32 v[32:33], v[30:31], v[4:5] op_sel:[0,1]
	s_waitcnt lgkmcnt(0)
	v_pk_fma_f32 v[38:39], v[30:31], v[4:5], v[32:33] op_sel:[0,0,1] op_sel_hi:[1,1,0]
	v_pk_fma_f32 v[4:5], v[30:31], v[4:5], v[32:33] op_sel:[0,0,1] op_sel_hi:[1,0,0] neg_lo:[1,0,0] neg_hi:[1,0,0]
	; wave barrier
	s_nop 0
	v_mov_b32_e32 v39, v5
	v_pk_add_f32 v[4:5], v[8:9], v[38:39] neg_lo:[0,1] neg_hi:[0,1]
	s_nop 0
	v_pk_fma_f32 v[8:9], v[8:9], 2.0, v[4:5] op_sel_hi:[1,0,1] neg_lo:[0,0,1] neg_hi:[0,0,1]
	ds_write_b64 v40, v[42:43]
	ds_write_b64 v40, v[2:3] offset:3528
	ds_write_b64 v22, v[8:9]
	ds_write_b64 v22, v[4:5] offset:3528
	ds_write_b64 v21, v[12:13] offset:1008
	;; [unrolled: 1-line block ×11, first 2 shown]
	s_waitcnt lgkmcnt(0)
	; wave barrier
	s_waitcnt lgkmcnt(0)
	s_and_saveexec_b64 s[2:3], s[0:1]
	s_cbranch_execz .LBB0_17
; %bb.16:
	ds_read2_b64 v[0:3], v40 offset1:63
	ds_read2_b64 v[4:7], v40 offset0:126 offset1:189
	v_lshl_add_u64 v[12:13], v[34:35], 3, v[36:37]
	v_add_u32_e32 v8, 0xc00, v40
	s_waitcnt lgkmcnt(1)
	global_store_dwordx2 v[12:13], v[0:1], off
	global_store_dwordx2 v[12:13], v[2:3], off offset:504
	s_waitcnt lgkmcnt(0)
	global_store_dwordx2 v[12:13], v[4:5], off offset:1008
	global_store_dwordx2 v[12:13], v[6:7], off offset:1512
	v_add_u32_e32 v0, 0x400, v40
	ds_read2_b64 v[0:3], v0 offset0:124 offset1:187
	v_add_u32_e32 v4, 0x800, v40
	ds_read2_b64 v[4:7], v4 offset0:122 offset1:185
	ds_read2_b64 v[8:11], v8 offset0:120 offset1:183
	s_waitcnt lgkmcnt(2)
	global_store_dwordx2 v[12:13], v[0:1], off offset:2016
	global_store_dwordx2 v[12:13], v[2:3], off offset:2520
	s_waitcnt lgkmcnt(1)
	global_store_dwordx2 v[12:13], v[4:5], off offset:3024
	global_store_dwordx2 v[12:13], v[6:7], off offset:3528
	s_waitcnt lgkmcnt(0)
	global_store_dwordx2 v[12:13], v[8:9], off offset:4032
	v_add_u32_e32 v0, 0x1000, v40
	ds_read2_b64 v[0:3], v0 offset0:118 offset1:181
	ds_read2_b64 v[4:7], v20 offset0:116 offset1:179
	v_add_co_u32_e32 v8, vcc, 0x1000, v12
	s_nop 1
	v_addc_co_u32_e32 v9, vcc, 0, v13, vcc
	global_store_dwordx2 v[8:9], v[10:11], off offset:440
	s_waitcnt lgkmcnt(1)
	global_store_dwordx2 v[8:9], v[0:1], off offset:944
	global_store_dwordx2 v[8:9], v[2:3], off offset:1448
	s_waitcnt lgkmcnt(0)
	global_store_dwordx2 v[8:9], v[4:5], off offset:1952
	global_store_dwordx2 v[8:9], v[6:7], off offset:2456
.LBB0_17:
	s_endpgm
	.section	.rodata,"a",@progbits
	.p2align	6, 0x0
	.amdhsa_kernel fft_rtc_back_len882_factors_9_7_7_2_wgs_63_tpt_63_sp_ip_CI_unitstride_sbrr_dirReg
		.amdhsa_group_segment_fixed_size 0
		.amdhsa_private_segment_fixed_size 0
		.amdhsa_kernarg_size 88
		.amdhsa_user_sgpr_count 2
		.amdhsa_user_sgpr_dispatch_ptr 0
		.amdhsa_user_sgpr_queue_ptr 0
		.amdhsa_user_sgpr_kernarg_segment_ptr 1
		.amdhsa_user_sgpr_dispatch_id 0
		.amdhsa_user_sgpr_kernarg_preload_length 0
		.amdhsa_user_sgpr_kernarg_preload_offset 0
		.amdhsa_user_sgpr_private_segment_size 0
		.amdhsa_uses_dynamic_stack 0
		.amdhsa_enable_private_segment 0
		.amdhsa_system_sgpr_workgroup_id_x 1
		.amdhsa_system_sgpr_workgroup_id_y 0
		.amdhsa_system_sgpr_workgroup_id_z 0
		.amdhsa_system_sgpr_workgroup_info 0
		.amdhsa_system_vgpr_workitem_id 0
		.amdhsa_next_free_vgpr 78
		.amdhsa_next_free_sgpr 22
		.amdhsa_accum_offset 80
		.amdhsa_reserve_vcc 1
		.amdhsa_float_round_mode_32 0
		.amdhsa_float_round_mode_16_64 0
		.amdhsa_float_denorm_mode_32 3
		.amdhsa_float_denorm_mode_16_64 3
		.amdhsa_dx10_clamp 1
		.amdhsa_ieee_mode 1
		.amdhsa_fp16_overflow 0
		.amdhsa_tg_split 0
		.amdhsa_exception_fp_ieee_invalid_op 0
		.amdhsa_exception_fp_denorm_src 0
		.amdhsa_exception_fp_ieee_div_zero 0
		.amdhsa_exception_fp_ieee_overflow 0
		.amdhsa_exception_fp_ieee_underflow 0
		.amdhsa_exception_fp_ieee_inexact 0
		.amdhsa_exception_int_div_zero 0
	.end_amdhsa_kernel
	.text
.Lfunc_end0:
	.size	fft_rtc_back_len882_factors_9_7_7_2_wgs_63_tpt_63_sp_ip_CI_unitstride_sbrr_dirReg, .Lfunc_end0-fft_rtc_back_len882_factors_9_7_7_2_wgs_63_tpt_63_sp_ip_CI_unitstride_sbrr_dirReg
                                        ; -- End function
	.section	.AMDGPU.csdata,"",@progbits
; Kernel info:
; codeLenInByte = 7356
; NumSgprs: 28
; NumVgprs: 78
; NumAgprs: 0
; TotalNumVgprs: 78
; ScratchSize: 0
; MemoryBound: 0
; FloatMode: 240
; IeeeMode: 1
; LDSByteSize: 0 bytes/workgroup (compile time only)
; SGPRBlocks: 3
; VGPRBlocks: 9
; NumSGPRsForWavesPerEU: 28
; NumVGPRsForWavesPerEU: 78
; AccumOffset: 80
; Occupancy: 6
; WaveLimiterHint : 1
; COMPUTE_PGM_RSRC2:SCRATCH_EN: 0
; COMPUTE_PGM_RSRC2:USER_SGPR: 2
; COMPUTE_PGM_RSRC2:TRAP_HANDLER: 0
; COMPUTE_PGM_RSRC2:TGID_X_EN: 1
; COMPUTE_PGM_RSRC2:TGID_Y_EN: 0
; COMPUTE_PGM_RSRC2:TGID_Z_EN: 0
; COMPUTE_PGM_RSRC2:TIDIG_COMP_CNT: 0
; COMPUTE_PGM_RSRC3_GFX90A:ACCUM_OFFSET: 19
; COMPUTE_PGM_RSRC3_GFX90A:TG_SPLIT: 0
	.text
	.p2alignl 6, 3212836864
	.fill 256, 4, 3212836864
	.type	__hip_cuid_be85e7e73fc65a15,@object ; @__hip_cuid_be85e7e73fc65a15
	.section	.bss,"aw",@nobits
	.globl	__hip_cuid_be85e7e73fc65a15
__hip_cuid_be85e7e73fc65a15:
	.byte	0                               ; 0x0
	.size	__hip_cuid_be85e7e73fc65a15, 1

	.ident	"AMD clang version 19.0.0git (https://github.com/RadeonOpenCompute/llvm-project roc-6.4.0 25133 c7fe45cf4b819c5991fe208aaa96edf142730f1d)"
	.section	".note.GNU-stack","",@progbits
	.addrsig
	.addrsig_sym __hip_cuid_be85e7e73fc65a15
	.amdgpu_metadata
---
amdhsa.kernels:
  - .agpr_count:     0
    .args:
      - .actual_access:  read_only
        .address_space:  global
        .offset:         0
        .size:           8
        .value_kind:     global_buffer
      - .offset:         8
        .size:           8
        .value_kind:     by_value
      - .actual_access:  read_only
        .address_space:  global
        .offset:         16
        .size:           8
        .value_kind:     global_buffer
      - .actual_access:  read_only
        .address_space:  global
        .offset:         24
        .size:           8
        .value_kind:     global_buffer
      - .offset:         32
        .size:           8
        .value_kind:     by_value
      - .actual_access:  read_only
        .address_space:  global
        .offset:         40
        .size:           8
        .value_kind:     global_buffer
      - .actual_access:  read_only
        .address_space:  global
        .offset:         48
        .size:           8
        .value_kind:     global_buffer
      - .offset:         56
        .size:           4
        .value_kind:     by_value
      - .actual_access:  read_only
        .address_space:  global
        .offset:         64
        .size:           8
        .value_kind:     global_buffer
      - .actual_access:  read_only
        .address_space:  global
        .offset:         72
        .size:           8
        .value_kind:     global_buffer
      - .address_space:  global
        .offset:         80
        .size:           8
        .value_kind:     global_buffer
    .group_segment_fixed_size: 0
    .kernarg_segment_align: 8
    .kernarg_segment_size: 88
    .language:       OpenCL C
    .language_version:
      - 2
      - 0
    .max_flat_workgroup_size: 63
    .name:           fft_rtc_back_len882_factors_9_7_7_2_wgs_63_tpt_63_sp_ip_CI_unitstride_sbrr_dirReg
    .private_segment_fixed_size: 0
    .sgpr_count:     28
    .sgpr_spill_count: 0
    .symbol:         fft_rtc_back_len882_factors_9_7_7_2_wgs_63_tpt_63_sp_ip_CI_unitstride_sbrr_dirReg.kd
    .uniform_work_group_size: 1
    .uses_dynamic_stack: false
    .vgpr_count:     78
    .vgpr_spill_count: 0
    .wavefront_size: 64
amdhsa.target:   amdgcn-amd-amdhsa--gfx950
amdhsa.version:
  - 1
  - 2
...

	.end_amdgpu_metadata
